;; amdgpu-corpus repo=ROCm/rocFFT kind=compiled arch=gfx906 opt=O3
	.text
	.amdgcn_target "amdgcn-amd-amdhsa--gfx906"
	.amdhsa_code_object_version 6
	.protected	fft_rtc_fwd_len350_factors_5_7_10_wgs_50_tpt_50_sp_ip_CI_unitstride_sbrr_C2R_dirReg ; -- Begin function fft_rtc_fwd_len350_factors_5_7_10_wgs_50_tpt_50_sp_ip_CI_unitstride_sbrr_C2R_dirReg
	.globl	fft_rtc_fwd_len350_factors_5_7_10_wgs_50_tpt_50_sp_ip_CI_unitstride_sbrr_C2R_dirReg
	.p2align	8
	.type	fft_rtc_fwd_len350_factors_5_7_10_wgs_50_tpt_50_sp_ip_CI_unitstride_sbrr_C2R_dirReg,@function
fft_rtc_fwd_len350_factors_5_7_10_wgs_50_tpt_50_sp_ip_CI_unitstride_sbrr_C2R_dirReg: ; @fft_rtc_fwd_len350_factors_5_7_10_wgs_50_tpt_50_sp_ip_CI_unitstride_sbrr_C2R_dirReg
; %bb.0:
	s_load_dwordx2 s[2:3], s[4:5], 0x50
	s_load_dwordx4 s[8:11], s[4:5], 0x0
	s_load_dwordx2 s[12:13], s[4:5], 0x18
	v_mul_u32_u24_e32 v1, 0x51f, v0
	v_add_u32_sdwa v5, s6, v1 dst_sel:DWORD dst_unused:UNUSED_PAD src0_sel:DWORD src1_sel:WORD_1
	v_mov_b32_e32 v3, 0
	s_waitcnt lgkmcnt(0)
	v_cmp_lt_u64_e64 s[0:1], s[10:11], 2
	v_mov_b32_e32 v1, 0
	v_mov_b32_e32 v6, v3
	s_and_b64 vcc, exec, s[0:1]
	v_mov_b32_e32 v2, 0
	s_cbranch_vccnz .LBB0_8
; %bb.1:
	s_load_dwordx2 s[0:1], s[4:5], 0x10
	s_add_u32 s6, s12, 8
	s_addc_u32 s7, s13, 0
	v_mov_b32_e32 v1, 0
	v_mov_b32_e32 v2, 0
	s_waitcnt lgkmcnt(0)
	s_add_u32 s14, s0, 8
	s_addc_u32 s15, s1, 0
	s_mov_b64 s[16:17], 1
.LBB0_2:                                ; =>This Inner Loop Header: Depth=1
	s_load_dwordx2 s[18:19], s[14:15], 0x0
                                        ; implicit-def: $vgpr7_vgpr8
	s_waitcnt lgkmcnt(0)
	v_or_b32_e32 v4, s19, v6
	v_cmp_ne_u64_e32 vcc, 0, v[3:4]
	s_and_saveexec_b64 s[0:1], vcc
	s_xor_b64 s[20:21], exec, s[0:1]
	s_cbranch_execz .LBB0_4
; %bb.3:                                ;   in Loop: Header=BB0_2 Depth=1
	v_cvt_f32_u32_e32 v4, s18
	v_cvt_f32_u32_e32 v7, s19
	s_sub_u32 s0, 0, s18
	s_subb_u32 s1, 0, s19
	v_mac_f32_e32 v4, 0x4f800000, v7
	v_rcp_f32_e32 v4, v4
	v_mul_f32_e32 v4, 0x5f7ffffc, v4
	v_mul_f32_e32 v7, 0x2f800000, v4
	v_trunc_f32_e32 v7, v7
	v_mac_f32_e32 v4, 0xcf800000, v7
	v_cvt_u32_f32_e32 v7, v7
	v_cvt_u32_f32_e32 v4, v4
	v_mul_lo_u32 v8, s0, v7
	v_mul_hi_u32 v9, s0, v4
	v_mul_lo_u32 v11, s1, v4
	v_mul_lo_u32 v10, s0, v4
	v_add_u32_e32 v8, v9, v8
	v_add_u32_e32 v8, v8, v11
	v_mul_hi_u32 v9, v4, v10
	v_mul_lo_u32 v11, v4, v8
	v_mul_hi_u32 v13, v4, v8
	v_mul_hi_u32 v12, v7, v10
	v_mul_lo_u32 v10, v7, v10
	v_mul_hi_u32 v14, v7, v8
	v_add_co_u32_e32 v9, vcc, v9, v11
	v_addc_co_u32_e32 v11, vcc, 0, v13, vcc
	v_mul_lo_u32 v8, v7, v8
	v_add_co_u32_e32 v9, vcc, v9, v10
	v_addc_co_u32_e32 v9, vcc, v11, v12, vcc
	v_addc_co_u32_e32 v10, vcc, 0, v14, vcc
	v_add_co_u32_e32 v8, vcc, v9, v8
	v_addc_co_u32_e32 v9, vcc, 0, v10, vcc
	v_add_co_u32_e32 v4, vcc, v4, v8
	v_addc_co_u32_e32 v7, vcc, v7, v9, vcc
	v_mul_lo_u32 v8, s0, v7
	v_mul_hi_u32 v9, s0, v4
	v_mul_lo_u32 v10, s1, v4
	v_mul_lo_u32 v11, s0, v4
	v_add_u32_e32 v8, v9, v8
	v_add_u32_e32 v8, v8, v10
	v_mul_lo_u32 v12, v4, v8
	v_mul_hi_u32 v13, v4, v11
	v_mul_hi_u32 v14, v4, v8
	;; [unrolled: 1-line block ×3, first 2 shown]
	v_mul_lo_u32 v11, v7, v11
	v_mul_hi_u32 v9, v7, v8
	v_add_co_u32_e32 v12, vcc, v13, v12
	v_addc_co_u32_e32 v13, vcc, 0, v14, vcc
	v_mul_lo_u32 v8, v7, v8
	v_add_co_u32_e32 v11, vcc, v12, v11
	v_addc_co_u32_e32 v10, vcc, v13, v10, vcc
	v_addc_co_u32_e32 v9, vcc, 0, v9, vcc
	v_add_co_u32_e32 v8, vcc, v10, v8
	v_addc_co_u32_e32 v9, vcc, 0, v9, vcc
	v_add_co_u32_e32 v4, vcc, v4, v8
	v_addc_co_u32_e32 v9, vcc, v7, v9, vcc
	v_mad_u64_u32 v[7:8], s[0:1], v5, v9, 0
	v_mul_hi_u32 v10, v5, v4
	v_add_co_u32_e32 v11, vcc, v10, v7
	v_addc_co_u32_e32 v12, vcc, 0, v8, vcc
	v_mad_u64_u32 v[7:8], s[0:1], v6, v4, 0
	v_mad_u64_u32 v[9:10], s[0:1], v6, v9, 0
	v_add_co_u32_e32 v4, vcc, v11, v7
	v_addc_co_u32_e32 v4, vcc, v12, v8, vcc
	v_addc_co_u32_e32 v7, vcc, 0, v10, vcc
	v_add_co_u32_e32 v4, vcc, v4, v9
	v_addc_co_u32_e32 v9, vcc, 0, v7, vcc
	v_mul_lo_u32 v10, s19, v4
	v_mul_lo_u32 v11, s18, v9
	v_mad_u64_u32 v[7:8], s[0:1], s18, v4, 0
	v_add3_u32 v8, v8, v11, v10
	v_sub_u32_e32 v10, v6, v8
	v_mov_b32_e32 v11, s19
	v_sub_co_u32_e32 v7, vcc, v5, v7
	v_subb_co_u32_e64 v10, s[0:1], v10, v11, vcc
	v_subrev_co_u32_e64 v11, s[0:1], s18, v7
	v_subbrev_co_u32_e64 v10, s[0:1], 0, v10, s[0:1]
	v_cmp_le_u32_e64 s[0:1], s19, v10
	v_cndmask_b32_e64 v12, 0, -1, s[0:1]
	v_cmp_le_u32_e64 s[0:1], s18, v11
	v_cndmask_b32_e64 v11, 0, -1, s[0:1]
	v_cmp_eq_u32_e64 s[0:1], s19, v10
	v_cndmask_b32_e64 v10, v12, v11, s[0:1]
	v_add_co_u32_e64 v11, s[0:1], 2, v4
	v_addc_co_u32_e64 v12, s[0:1], 0, v9, s[0:1]
	v_add_co_u32_e64 v13, s[0:1], 1, v4
	v_addc_co_u32_e64 v14, s[0:1], 0, v9, s[0:1]
	v_subb_co_u32_e32 v8, vcc, v6, v8, vcc
	v_cmp_ne_u32_e64 s[0:1], 0, v10
	v_cmp_le_u32_e32 vcc, s19, v8
	v_cndmask_b32_e64 v10, v14, v12, s[0:1]
	v_cndmask_b32_e64 v12, 0, -1, vcc
	v_cmp_le_u32_e32 vcc, s18, v7
	v_cndmask_b32_e64 v7, 0, -1, vcc
	v_cmp_eq_u32_e32 vcc, s19, v8
	v_cndmask_b32_e32 v7, v12, v7, vcc
	v_cmp_ne_u32_e32 vcc, 0, v7
	v_cndmask_b32_e64 v7, v13, v11, s[0:1]
	v_cndmask_b32_e32 v8, v9, v10, vcc
	v_cndmask_b32_e32 v7, v4, v7, vcc
.LBB0_4:                                ;   in Loop: Header=BB0_2 Depth=1
	s_andn2_saveexec_b64 s[0:1], s[20:21]
	s_cbranch_execz .LBB0_6
; %bb.5:                                ;   in Loop: Header=BB0_2 Depth=1
	v_cvt_f32_u32_e32 v4, s18
	s_sub_i32 s20, 0, s18
	v_rcp_iflag_f32_e32 v4, v4
	v_mul_f32_e32 v4, 0x4f7ffffe, v4
	v_cvt_u32_f32_e32 v4, v4
	v_mul_lo_u32 v7, s20, v4
	v_mul_hi_u32 v7, v4, v7
	v_add_u32_e32 v4, v4, v7
	v_mul_hi_u32 v4, v5, v4
	v_mul_lo_u32 v7, v4, s18
	v_add_u32_e32 v8, 1, v4
	v_sub_u32_e32 v7, v5, v7
	v_subrev_u32_e32 v9, s18, v7
	v_cmp_le_u32_e32 vcc, s18, v7
	v_cndmask_b32_e32 v7, v7, v9, vcc
	v_cndmask_b32_e32 v4, v4, v8, vcc
	v_add_u32_e32 v8, 1, v4
	v_cmp_le_u32_e32 vcc, s18, v7
	v_cndmask_b32_e32 v7, v4, v8, vcc
	v_mov_b32_e32 v8, v3
.LBB0_6:                                ;   in Loop: Header=BB0_2 Depth=1
	s_or_b64 exec, exec, s[0:1]
	v_mul_lo_u32 v4, v8, s18
	v_mul_lo_u32 v11, v7, s19
	v_mad_u64_u32 v[9:10], s[0:1], v7, s18, 0
	s_load_dwordx2 s[0:1], s[6:7], 0x0
	s_add_u32 s16, s16, 1
	v_add3_u32 v4, v10, v11, v4
	v_sub_co_u32_e32 v5, vcc, v5, v9
	v_subb_co_u32_e32 v4, vcc, v6, v4, vcc
	s_waitcnt lgkmcnt(0)
	v_mul_lo_u32 v4, s0, v4
	v_mul_lo_u32 v6, s1, v5
	v_mad_u64_u32 v[1:2], s[0:1], s0, v5, v[1:2]
	s_addc_u32 s17, s17, 0
	s_add_u32 s6, s6, 8
	v_add3_u32 v2, v6, v2, v4
	v_mov_b32_e32 v4, s10
	v_mov_b32_e32 v5, s11
	s_addc_u32 s7, s7, 0
	v_cmp_ge_u64_e32 vcc, s[16:17], v[4:5]
	s_add_u32 s14, s14, 8
	s_addc_u32 s15, s15, 0
	s_cbranch_vccnz .LBB0_9
; %bb.7:                                ;   in Loop: Header=BB0_2 Depth=1
	v_mov_b32_e32 v5, v7
	v_mov_b32_e32 v6, v8
	s_branch .LBB0_2
.LBB0_8:
	v_mov_b32_e32 v8, v6
	v_mov_b32_e32 v7, v5
.LBB0_9:
	s_lshl_b64 s[0:1], s[10:11], 3
	s_add_u32 s0, s12, s0
	s_addc_u32 s1, s13, s1
	s_load_dwordx2 s[6:7], s[0:1], 0x0
	s_load_dwordx2 s[10:11], s[4:5], 0x20
	s_waitcnt lgkmcnt(0)
	v_mad_u64_u32 v[1:2], s[0:1], s6, v7, v[1:2]
	v_mul_lo_u32 v3, s6, v8
	v_mul_lo_u32 v4, s7, v7
	s_mov_b32 s0, 0x51eb852
	v_mul_hi_u32 v5, v0, s0
	v_cmp_gt_u64_e32 vcc, s[10:11], v[7:8]
	v_add3_u32 v2, v4, v2, v3
	v_lshlrev_b64 v[24:25], 3, v[1:2]
	v_mul_u32_u24_e32 v3, 50, v5
	v_sub_u32_e32 v22, v0, v3
	s_and_saveexec_b64 s[4:5], vcc
	s_cbranch_execz .LBB0_13
; %bb.10:
	v_mov_b32_e32 v23, 0
	v_mov_b32_e32 v1, s3
	v_add_co_u32_e64 v0, s[0:1], s2, v24
	v_lshlrev_b64 v[2:3], 3, v[22:23]
	v_addc_co_u32_e64 v1, s[0:1], v1, v25, s[0:1]
	v_add_co_u32_e64 v2, s[0:1], v0, v2
	v_addc_co_u32_e64 v3, s[0:1], v1, v3, s[0:1]
	global_load_dwordx2 v[4:5], v[2:3], off
	global_load_dwordx2 v[6:7], v[2:3], off offset:400
	global_load_dwordx2 v[8:9], v[2:3], off offset:800
	;; [unrolled: 1-line block ×6, first 2 shown]
	v_lshl_add_u32 v2, v22, 3, 0
	v_cmp_eq_u32_e64 s[0:1], 49, v22
	s_waitcnt vmcnt(5)
	ds_write2_b64 v2, v[4:5], v[6:7] offset1:50
	s_waitcnt vmcnt(3)
	ds_write2_b64 v2, v[8:9], v[10:11] offset0:100 offset1:150
	s_waitcnt vmcnt(1)
	ds_write2_b64 v2, v[12:13], v[14:15] offset0:200 offset1:250
	s_waitcnt vmcnt(0)
	ds_write_b64 v2, v[16:17] offset:2400
	s_and_saveexec_b64 s[6:7], s[0:1]
	s_cbranch_execz .LBB0_12
; %bb.11:
	global_load_dwordx2 v[0:1], v[0:1], off offset:2800
	v_mov_b32_e32 v22, 49
	s_waitcnt vmcnt(0)
	ds_write_b64 v23, v[0:1] offset:2800
.LBB0_12:
	s_or_b64 exec, exec, s[6:7]
.LBB0_13:
	s_or_b64 exec, exec, s[4:5]
	v_lshlrev_b32_e32 v0, 3, v22
	v_add_u32_e32 v28, 0, v0
	s_waitcnt lgkmcnt(0)
	; wave barrier
	s_waitcnt lgkmcnt(0)
	v_sub_u32_e32 v4, 0, v0
	ds_read_b32 v5, v28
	ds_read_b32 v6, v4 offset:2800
	v_cmp_ne_u32_e64 s[0:1], 0, v22
                                        ; implicit-def: $vgpr2_vgpr3
	s_waitcnt lgkmcnt(0)
	v_add_f32_e32 v0, v6, v5
	v_sub_f32_e32 v1, v5, v6
	s_and_saveexec_b64 s[4:5], s[0:1]
	s_xor_b64 s[4:5], exec, s[4:5]
	s_cbranch_execz .LBB0_15
; %bb.14:
	v_mov_b32_e32 v23, 0
	v_lshlrev_b64 v[0:1], 3, v[22:23]
	v_mov_b32_e32 v2, s9
	v_add_co_u32_e64 v0, s[0:1], s8, v0
	v_addc_co_u32_e64 v1, s[0:1], v2, v1, s[0:1]
	global_load_dwordx2 v[2:3], v[0:1], off offset:2760
	ds_read_b32 v0, v4 offset:2804
	ds_read_b32 v1, v28 offset:4
	v_add_f32_e32 v7, v6, v5
	v_sub_f32_e32 v8, v5, v6
	s_waitcnt lgkmcnt(0)
	v_add_f32_e32 v9, v0, v1
	v_sub_f32_e32 v0, v1, v0
	s_waitcnt vmcnt(0)
	v_fma_f32 v10, v8, v3, v7
	v_fma_f32 v1, v9, v3, v0
	v_fma_f32 v5, -v8, v3, v7
	v_fma_f32 v6, v9, v3, -v0
	v_fma_f32 v0, -v2, v9, v10
	v_fmac_f32_e32 v1, v8, v2
	v_fmac_f32_e32 v5, v2, v9
	;; [unrolled: 1-line block ×3, first 2 shown]
	v_mov_b32_e32 v2, v22
	ds_write_b64 v4, v[5:6] offset:2800
	v_mov_b32_e32 v3, v23
.LBB0_15:
	s_andn2_saveexec_b64 s[0:1], s[4:5]
	s_cbranch_execz .LBB0_17
; %bb.16:
	v_mov_b32_e32 v7, 0
	ds_read_b64 v[2:3], v7 offset:1400
	s_waitcnt lgkmcnt(0)
	v_add_f32_e32 v5, v2, v2
	v_mul_f32_e32 v6, -2.0, v3
	v_mov_b32_e32 v2, 0
	v_mov_b32_e32 v3, 0
	ds_write_b64 v7, v[5:6] offset:1400
.LBB0_17:
	s_or_b64 exec, exec, s[0:1]
	s_add_u32 s0, s8, 0xac8
	v_lshlrev_b64 v[2:3], 3, v[2:3]
	s_addc_u32 s1, s9, 0
	v_mov_b32_e32 v5, s1
	v_add_co_u32_e64 v2, s[0:1], s0, v2
	v_addc_co_u32_e64 v3, s[0:1], v5, v3, s[0:1]
	global_load_dwordx2 v[5:6], v[2:3], off offset:400
	global_load_dwordx2 v[7:8], v[2:3], off offset:800
	ds_write_b64 v28, v[0:1]
	ds_read_b64 v[0:1], v28 offset:400
	ds_read_b64 v[9:10], v4 offset:2400
	v_cmp_gt_u32_e64 s[0:1], 25, v22
	s_waitcnt lgkmcnt(0)
	v_add_f32_e32 v11, v0, v9
	v_add_f32_e32 v12, v10, v1
	v_sub_f32_e32 v13, v0, v9
	v_sub_f32_e32 v0, v1, v10
	s_waitcnt vmcnt(1)
	v_fma_f32 v14, v13, v6, v11
	v_fma_f32 v1, v12, v6, v0
	v_fma_f32 v9, -v13, v6, v11
	v_fma_f32 v10, v12, v6, -v0
	v_fma_f32 v0, -v5, v12, v14
	v_fmac_f32_e32 v1, v13, v5
	v_fmac_f32_e32 v9, v5, v12
	;; [unrolled: 1-line block ×3, first 2 shown]
	ds_write_b64 v28, v[0:1] offset:400
	ds_write_b64 v4, v[9:10] offset:2400
	ds_read_b64 v[0:1], v28 offset:800
	ds_read_b64 v[5:6], v4 offset:2000
	s_waitcnt lgkmcnt(0)
	v_add_f32_e32 v9, v0, v5
	v_add_f32_e32 v10, v6, v1
	v_sub_f32_e32 v11, v0, v5
	v_sub_f32_e32 v0, v1, v6
	s_waitcnt vmcnt(0)
	v_fma_f32 v12, v11, v8, v9
	v_fma_f32 v1, v10, v8, v0
	v_fma_f32 v5, -v11, v8, v9
	v_fma_f32 v6, v10, v8, -v0
	v_fma_f32 v0, -v7, v10, v12
	v_fmac_f32_e32 v1, v11, v7
	v_fmac_f32_e32 v5, v7, v10
	;; [unrolled: 1-line block ×3, first 2 shown]
	ds_write_b64 v28, v[0:1] offset:800
	ds_write_b64 v4, v[5:6] offset:2000
	s_and_saveexec_b64 s[4:5], s[0:1]
	s_cbranch_execz .LBB0_19
; %bb.18:
	global_load_dwordx2 v[0:1], v[2:3], off offset:1200
	ds_read_b64 v[2:3], v28 offset:1200
	ds_read_b64 v[5:6], v4 offset:1600
	s_waitcnt lgkmcnt(0)
	v_add_f32_e32 v7, v2, v5
	v_add_f32_e32 v8, v6, v3
	v_sub_f32_e32 v9, v2, v5
	v_sub_f32_e32 v3, v3, v6
	s_waitcnt vmcnt(0)
	v_fma_f32 v10, v9, v1, v7
	v_fma_f32 v2, v8, v1, v3
	v_fma_f32 v5, -v9, v1, v7
	v_fma_f32 v6, v8, v1, -v3
	v_fma_f32 v1, -v0, v8, v10
	v_fmac_f32_e32 v2, v9, v0
	v_fmac_f32_e32 v5, v0, v8
	;; [unrolled: 1-line block ×3, first 2 shown]
	ds_write_b64 v28, v[1:2] offset:1200
	ds_write_b64 v4, v[5:6] offset:1600
.LBB0_19:
	s_or_b64 exec, exec, s[4:5]
	v_add_u32_e32 v4, 0x400, v28
	s_waitcnt lgkmcnt(0)
	; wave barrier
	s_waitcnt lgkmcnt(0)
	s_waitcnt lgkmcnt(0)
	; wave barrier
	s_waitcnt lgkmcnt(0)
	ds_read2_b64 v[0:3], v28 offset0:70 offset1:120
	ds_read2_b64 v[6:9], v28 offset0:140 offset1:190
	;; [unrolled: 1-line block ×3, first 2 shown]
	v_add_u32_e32 v4, 0x800, v28
	ds_read2_b64 v[14:17], v4 offset0:24 offset1:74
	ds_read2_b64 v[18:21], v28 offset1:50
	s_waitcnt lgkmcnt(0)
	v_sub_f32_e32 v4, v0, v6
	v_add_f32_e32 v23, v6, v10
	v_sub_f32_e32 v5, v14, v10
	v_fma_f32 v26, -0.5, v23, v18
	v_add_f32_e32 v23, v7, v11
	v_fma_f32 v27, -0.5, v23, v19
	v_sub_f32_e32 v23, v1, v7
	v_sub_f32_e32 v29, v15, v11
	v_add_f32_e32 v31, v4, v5
	v_add_f32_e32 v4, v18, v0
	;; [unrolled: 1-line block ×4, first 2 shown]
	v_sub_f32_e32 v33, v1, v15
	v_mov_b32_e32 v29, v26
	v_mov_b32_e32 v30, v27
	v_sub_f32_e32 v35, v0, v14
	v_add_f32_e32 v4, v4, v6
	v_add_f32_e32 v5, v5, v7
	v_fmac_f32_e32 v29, 0x3f737871, v33
	v_sub_f32_e32 v34, v7, v11
	v_fmac_f32_e32 v30, 0xbf737871, v35
	v_sub_f32_e32 v36, v6, v10
	v_add_f32_e32 v4, v4, v10
	v_add_f32_e32 v5, v5, v11
	v_fmac_f32_e32 v29, 0x3f167918, v34
	v_fmac_f32_e32 v30, 0xbf167918, v36
	v_lshlrev_b32_e32 v23, 5, v22
	v_add_f32_e32 v4, v4, v14
	v_add_f32_e32 v5, v5, v15
	v_fmac_f32_e32 v29, 0x3e9e377a, v31
	v_fmac_f32_e32 v30, 0x3e9e377a, v32
	v_add_u32_e32 v23, v28, v23
	; wave barrier
	ds_write2_b64 v23, v[4:5], v[29:30] offset1:1
	v_sub_f32_e32 v4, v6, v0
	v_sub_f32_e32 v5, v10, v14
	v_add_f32_e32 v0, v0, v14
	v_add_f32_e32 v5, v4, v5
	v_fma_f32 v4, -0.5, v0, v18
	v_mov_b32_e32 v0, v4
	v_fmac_f32_e32 v0, 0xbf737871, v34
	v_fmac_f32_e32 v4, 0x3f737871, v34
	;; [unrolled: 1-line block ×6, first 2 shown]
	v_add_f32_e32 v5, v1, v15
	v_fma_f32 v5, -0.5, v5, v19
	v_sub_f32_e32 v1, v7, v1
	v_sub_f32_e32 v6, v11, v15
	v_add_f32_e32 v6, v1, v6
	v_mov_b32_e32 v1, v5
	v_fmac_f32_e32 v1, 0x3f737871, v36
	v_fmac_f32_e32 v5, 0xbf737871, v36
	;; [unrolled: 1-line block ×6, first 2 shown]
	ds_write2_b64 v23, v[0:1], v[4:5] offset0:2 offset1:3
	v_fmac_f32_e32 v26, 0xbf737871, v33
	v_fmac_f32_e32 v27, 0x3f737871, v35
	v_sub_f32_e32 v0, v2, v8
	v_sub_f32_e32 v1, v16, v12
	v_fmac_f32_e32 v26, 0xbf167918, v34
	v_fmac_f32_e32 v27, 0x3f167918, v36
	v_add_f32_e32 v0, v0, v1
	v_sub_f32_e32 v1, v8, v2
	v_sub_f32_e32 v4, v12, v16
	v_fmac_f32_e32 v26, 0x3e9e377a, v31
	v_fmac_f32_e32 v27, 0x3e9e377a, v32
	v_add_f32_e32 v5, v1, v4
	v_add_f32_e32 v4, v2, v16
	ds_write_b64 v23, v[26:27] offset:32
	v_fma_f32 v26, -0.5, v4, v20
	v_sub_f32_e32 v1, v9, v13
	v_mov_b32_e32 v4, v26
	v_fmac_f32_e32 v4, 0xbf737871, v1
	v_sub_f32_e32 v10, v3, v17
	v_fmac_f32_e32 v26, 0x3f737871, v1
	v_fmac_f32_e32 v4, 0x3f167918, v10
	;; [unrolled: 1-line block ×5, first 2 shown]
	v_sub_f32_e32 v5, v3, v9
	v_sub_f32_e32 v6, v17, v13
	v_add_f32_e32 v11, v5, v6
	v_add_f32_e32 v5, v3, v17
	v_fma_f32 v27, -0.5, v5, v21
	v_sub_f32_e32 v5, v9, v3
	v_sub_f32_e32 v6, v13, v17
	v_add_f32_e32 v6, v5, v6
	v_mov_b32_e32 v5, v27
	v_sub_f32_e32 v14, v8, v12
	v_fmac_f32_e32 v5, 0x3f737871, v14
	v_sub_f32_e32 v18, v2, v16
	v_fmac_f32_e32 v27, 0xbf737871, v14
	v_fmac_f32_e32 v5, 0xbf167918, v18
	;; [unrolled: 1-line block ×5, first 2 shown]
	v_add_f32_e32 v6, v8, v12
	v_add_f32_e32 v7, v9, v13
	v_fma_f32 v15, -0.5, v6, v20
	v_fma_f32 v19, -0.5, v7, v21
	v_mov_b32_e32 v6, v15
	v_mov_b32_e32 v7, v19
	v_fmac_f32_e32 v6, 0xbf737871, v10
	v_fmac_f32_e32 v7, 0x3f737871, v18
	;; [unrolled: 1-line block ×6, first 2 shown]
	v_cmp_gt_u32_e64 s[0:1], 20, v22
	s_and_saveexec_b64 s[4:5], s[0:1]
	s_cbranch_execz .LBB0_21
; %bb.20:
	v_mul_f32_e32 v18, 0x3f737871, v18
	v_mul_f32_e32 v10, 0x3f737871, v10
	v_add_f32_e32 v3, v21, v3
	v_add_f32_e32 v2, v20, v2
	v_sub_f32_e32 v18, v19, v18
	v_mul_f32_e32 v19, 0x3f167918, v1
	v_mul_f32_e32 v1, 0x3f167918, v14
	v_add_f32_e32 v3, v3, v9
	v_add_f32_e32 v9, v15, v10
	;; [unrolled: 1-line block ×3, first 2 shown]
	v_mul_f32_e32 v0, 0x3e9e377a, v0
	v_mul_f32_e32 v11, 0x3e9e377a, v11
	v_sub_f32_e32 v1, v18, v1
	v_add_f32_e32 v3, v3, v13
	v_add_f32_e32 v9, v19, v9
	;; [unrolled: 1-line block ×7, first 2 shown]
	ds_write2_b64 v23, v[2:3], v[0:1] offset0:250 offset1:251
	ds_write2_b64 v23, v[4:5], v[26:27] offset0:252 offset1:253
	ds_write_b64 v23, v[6:7] offset:2032
.LBB0_21:
	s_or_b64 exec, exec, s[4:5]
	s_movk_i32 s0, 0xcd
	v_mul_lo_u16_sdwa v0, v22, s0 dst_sel:DWORD dst_unused:UNUSED_PAD src0_sel:BYTE_0 src1_sel:DWORD
	v_lshrrev_b16_e32 v23, 10, v0
	v_mul_lo_u16_e32 v0, 5, v23
	v_sub_u16_e32 v37, v22, v0
	v_mov_b32_e32 v0, 6
	v_mul_u32_u24_sdwa v0, v37, v0 dst_sel:DWORD dst_unused:UNUSED_PAD src0_sel:BYTE_0 src1_sel:DWORD
	v_lshlrev_b32_e32 v16, 3, v0
	s_waitcnt lgkmcnt(0)
	; wave barrier
	s_waitcnt lgkmcnt(0)
	global_load_dwordx4 v[0:3], v16, s[8:9]
	global_load_dwordx4 v[8:11], v16, s[8:9] offset:16
	global_load_dwordx4 v[12:15], v16, s[8:9] offset:32
	ds_read2_b64 v[16:19], v28 offset1:50
	ds_read2_b64 v[29:32], v28 offset0:100 offset1:150
	ds_read2_b64 v[33:36], v28 offset0:200 offset1:250
	ds_read_b64 v[20:21], v28 offset:2400
	s_mov_b32 s1, 0x3f3bfb3b
	s_mov_b32 s4, 0xbf3bfb3b
	;; [unrolled: 1-line block ×3, first 2 shown]
	s_waitcnt lgkmcnt(0)
	; wave barrier
	s_waitcnt vmcnt(2) lgkmcnt(0)
	v_mul_f32_e32 v38, v1, v19
	v_mul_f32_e32 v1, v1, v18
	;; [unrolled: 1-line block ×4, first 2 shown]
	s_waitcnt vmcnt(1)
	v_mul_f32_e32 v40, v9, v32
	v_mul_f32_e32 v9, v9, v31
	;; [unrolled: 1-line block ×4, first 2 shown]
	s_waitcnt vmcnt(0)
	v_mul_f32_e32 v42, v13, v36
	v_mul_f32_e32 v13, v13, v35
	;; [unrolled: 1-line block ×4, first 2 shown]
	v_fma_f32 v18, v0, v18, -v38
	v_fmac_f32_e32 v1, v0, v19
	v_fma_f32 v0, v2, v29, -v39
	v_fmac_f32_e32 v3, v2, v30
	;; [unrolled: 2-line block ×6, first 2 shown]
	v_add_f32_e32 v14, v18, v12
	v_add_f32_e32 v19, v1, v15
	v_sub_f32_e32 v12, v18, v12
	v_sub_f32_e32 v1, v1, v15
	v_add_f32_e32 v15, v0, v10
	v_add_f32_e32 v18, v3, v13
	v_sub_f32_e32 v0, v0, v10
	v_sub_f32_e32 v3, v3, v13
	;; [unrolled: 4-line block ×4, first 2 shown]
	v_sub_f32_e32 v14, v14, v10
	v_sub_f32_e32 v19, v19, v13
	;; [unrolled: 1-line block ×4, first 2 shown]
	v_add_f32_e32 v29, v2, v0
	v_add_f32_e32 v30, v8, v3
	;; [unrolled: 1-line block ×4, first 2 shown]
	v_sub_f32_e32 v31, v2, v0
	v_sub_f32_e32 v32, v8, v3
	;; [unrolled: 1-line block ×6, first 2 shown]
	v_add_f32_e32 v11, v29, v12
	v_add_f32_e32 v12, v30, v1
	v_mul_f32_e32 v13, 0x3f4a47b2, v14
	v_mul_f32_e32 v14, 0x3f4a47b2, v19
	;; [unrolled: 1-line block ×4, first 2 shown]
	v_add_f32_e32 v0, v9, v16
	v_add_f32_e32 v1, v10, v17
	v_mul_f32_e32 v30, 0xbf08b237, v31
	v_mul_f32_e32 v31, 0xbf08b237, v32
	v_fma_f32 v16, v20, s1, -v19
	v_fma_f32 v17, v21, s1, -v29
	;; [unrolled: 1-line block ×3, first 2 shown]
	v_fmac_f32_e32 v13, 0x3d64c772, v15
	v_fma_f32 v15, v21, s4, -v14
	v_mov_b32_e32 v20, v0
	v_mov_b32_e32 v21, v1
	v_mul_f32_e32 v32, 0x3f5ff5aa, v33
	v_fmac_f32_e32 v20, 0xbf955555, v9
	v_fmac_f32_e32 v21, 0xbf955555, v10
	v_fma_f32 v9, v33, s0, -v30
	v_fma_f32 v10, v3, s0, -v31
	s_mov_b32 s0, 0xbeae86e6
	v_mul_f32_e32 v34, 0x3f5ff5aa, v3
	v_fmac_f32_e32 v14, 0x3d64c772, v18
	v_fma_f32 v18, v2, s0, -v32
	v_fmac_f32_e32 v30, 0x3eae86e6, v2
	v_fmac_f32_e32 v31, 0x3eae86e6, v8
	v_fma_f32 v29, v8, s0, -v34
	v_add_f32_e32 v8, v16, v20
	v_add_f32_e32 v16, v17, v21
	;; [unrolled: 1-line block ×4, first 2 shown]
	v_fmac_f32_e32 v18, 0x3ee1c552, v11
	v_add_f32_e32 v32, v13, v20
	v_fmac_f32_e32 v30, 0x3ee1c552, v11
	v_fmac_f32_e32 v9, 0x3ee1c552, v11
	v_sub_f32_e32 v13, v19, v18
	v_add_f32_e32 v11, v18, v19
	v_mov_b32_e32 v19, 3
	v_add_f32_e32 v33, v14, v21
	v_fmac_f32_e32 v31, 0x3ee1c552, v12
	v_fmac_f32_e32 v10, 0x3ee1c552, v12
	;; [unrolled: 1-line block ×3, first 2 shown]
	v_mul_u32_u24_e32 v18, 0x118, v23
	v_lshlrev_b32_sdwa v19, v19, v37 dst_sel:DWORD dst_unused:UNUSED_PAD src0_sel:DWORD src1_sel:BYTE_0
	v_add_f32_e32 v2, v31, v32
	v_sub_f32_e32 v3, v33, v30
	v_add_f32_e32 v12, v29, v17
	v_sub_f32_e32 v14, v8, v10
	v_add_f32_e32 v15, v9, v16
	v_add_f32_e32 v8, v10, v8
	v_sub_f32_e32 v9, v16, v9
	v_sub_f32_e32 v10, v17, v29
	;; [unrolled: 1-line block ×3, first 2 shown]
	v_add_f32_e32 v17, v30, v33
	v_add3_u32 v18, 0, v18, v19
	v_cmp_gt_u32_e64 s[0:1], 35, v22
	ds_write2_b64 v18, v[0:1], v[2:3] offset1:5
	ds_write2_b64 v18, v[12:13], v[14:15] offset0:10 offset1:15
	ds_write2_b64 v18, v[8:9], v[10:11] offset0:20 offset1:25
	ds_write_b64 v18, v[16:17] offset:240
	s_waitcnt lgkmcnt(0)
	; wave barrier
	s_waitcnt lgkmcnt(0)
	s_and_saveexec_b64 s[4:5], s[0:1]
	s_cbranch_execz .LBB0_23
; %bb.22:
	v_add_u32_e32 v0, 0x800, v28
	ds_read2_b64 v[4:7], v0 offset0:24 offset1:59
	ds_read2_b64 v[0:3], v28 offset1:35
	ds_read2_b64 v[16:19], v28 offset0:210 offset1:245
	ds_read2_b64 v[12:15], v28 offset0:70 offset1:105
	;; [unrolled: 1-line block ×3, first 2 shown]
	s_waitcnt lgkmcnt(4)
	v_mov_b32_e32 v27, v5
	v_mov_b32_e32 v26, v4
	s_waitcnt lgkmcnt(2)
	v_mov_b32_e32 v5, v19
	v_mov_b32_e32 v4, v18
.LBB0_23:
	s_or_b64 exec, exec, s[4:5]
	s_waitcnt lgkmcnt(0)
	; wave barrier
	s_waitcnt lgkmcnt(0)
	s_and_saveexec_b64 s[4:5], s[0:1]
	s_cbranch_execz .LBB0_25
; %bb.24:
	v_subrev_u32_e32 v18, 35, v22
	v_cndmask_b32_e64 v18, v18, v22, s[0:1]
	v_mul_i32_i24_e32 v18, 9, v18
	v_mov_b32_e32 v19, 0
	v_lshlrev_b64 v[18:19], 3, v[18:19]
	v_mov_b32_e32 v20, s9
	v_add_co_u32_e64 v41, s[0:1], s8, v18
	v_addc_co_u32_e64 v42, s[0:1], v20, v19, s[0:1]
	global_load_dwordx2 v[33:34], v[41:42], off offset:304
	global_load_dwordx4 v[18:21], v[41:42], off offset:272
	global_load_dwordx4 v[29:32], v[41:42], off offset:240
	s_mov_b32 s1, 0x3f167918
	s_mov_b32 s0, 0x3f737871
	;; [unrolled: 1-line block ×4, first 2 shown]
	s_waitcnt vmcnt(2)
	v_mul_f32_e32 v23, v7, v34
	v_mul_f32_e32 v43, v6, v34
	v_fma_f32 v6, v6, v33, -v23
	v_fmac_f32_e32 v43, v7, v33
	global_load_dwordx4 v[33:36], v[41:42], off offset:256
	global_load_dwordx4 v[37:40], v[41:42], off offset:288
	s_waitcnt vmcnt(3)
	v_mul_f32_e32 v41, v16, v21
	v_mul_f32_e32 v7, v17, v21
	v_fmac_f32_e32 v41, v17, v20
	v_fma_f32 v7, v16, v20, -v7
	s_waitcnt vmcnt(2)
	v_mul_f32_e32 v23, v12, v32
	v_fmac_f32_e32 v23, v13, v31
	s_waitcnt vmcnt(1)
	v_mul_f32_e32 v17, v8, v36
	v_mul_f32_e32 v16, v9, v36
	;; [unrolled: 1-line block ×4, first 2 shown]
	v_fmac_f32_e32 v17, v9, v35
	v_fma_f32 v9, v8, v35, -v16
	v_fma_f32 v8, v14, v33, -v20
	v_fmac_f32_e32 v21, v15, v33
	s_waitcnt vmcnt(0)
	v_mul_f32_e32 v15, v26, v40
	v_mul_f32_e32 v14, v13, v32
	;; [unrolled: 1-line block ×3, first 2 shown]
	v_fma_f32 v31, v12, v31, -v14
	v_mul_f32_e32 v32, v4, v38
	v_fmac_f32_e32 v15, v27, v39
	v_fma_f32 v12, v26, v39, -v16
	v_mul_f32_e32 v26, v2, v30
	v_mul_f32_e32 v20, v11, v19
	;; [unrolled: 1-line block ×4, first 2 shown]
	v_fmac_f32_e32 v32, v5, v37
	v_fmac_f32_e32 v26, v3, v29
	v_sub_f32_e32 v3, v23, v17
	v_sub_f32_e32 v5, v15, v41
	v_mul_f32_e32 v19, v10, v19
	v_fma_f32 v10, v10, v18, -v20
	v_fma_f32 v4, v4, v37, -v13
	;; [unrolled: 1-line block ×3, first 2 shown]
	v_add_f32_e32 v3, v3, v5
	v_add_f32_e32 v5, v8, v6
	v_fmac_f32_e32 v19, v11, v18
	v_add_f32_e32 v20, v10, v4
	v_sub_f32_e32 v39, v10, v8
	v_sub_f32_e32 v40, v4, v6
	v_fma_f32 v5, -0.5, v5, v2
	v_sub_f32_e32 v29, v19, v32
	v_fma_f32 v44, -0.5, v20, v2
	v_add_f32_e32 v20, v39, v40
	v_mov_b32_e32 v40, v5
	v_add_f32_e32 v14, v17, v41
	v_sub_f32_e32 v27, v21, v43
	v_sub_f32_e32 v36, v17, v23
	;; [unrolled: 1-line block ×3, first 2 shown]
	v_add_f32_e32 v38, v23, v15
	v_fmac_f32_e32 v40, 0x3f737871, v29
	v_fmac_f32_e32 v5, 0xbf737871, v29
	v_sub_f32_e32 v16, v8, v10
	v_sub_f32_e32 v18, v6, v4
	;; [unrolled: 1-line block ×4, first 2 shown]
	v_fma_f32 v42, -0.5, v14, v1
	v_add_f32_e32 v14, v36, v37
	v_fma_f32 v36, -0.5, v38, v1
	v_fmac_f32_e32 v40, 0xbf167918, v27
	v_fmac_f32_e32 v5, 0x3f167918, v27
	v_sub_f32_e32 v11, v9, v7
	v_add_f32_e32 v18, v16, v18
	v_sub_f32_e32 v16, v19, v21
	v_add_f32_e32 v30, v30, v33
	v_sub_f32_e32 v33, v32, v43
	v_mov_b32_e32 v37, v36
	v_fmac_f32_e32 v40, 0x3e9e377a, v20
	v_fmac_f32_e32 v5, 0x3e9e377a, v20
	v_mov_b32_e32 v20, v44
	v_sub_f32_e32 v13, v31, v12
	v_add_f32_e32 v16, v16, v33
	v_mov_b32_e32 v33, v42
	v_fmac_f32_e32 v37, 0xbf737871, v11
	v_fmac_f32_e32 v36, 0x3f737871, v11
	;; [unrolled: 1-line block ×9, first 2 shown]
	v_add_f32_e32 v13, v19, v32
	v_fmac_f32_e32 v44, 0x3f167918, v29
	v_fmac_f32_e32 v20, 0x3e9e377a, v18
	v_fma_f32 v13, -0.5, v13, v26
	v_fmac_f32_e32 v44, 0x3e9e377a, v18
	v_add_f32_e32 v18, v26, v21
	v_sub_f32_e32 v35, v8, v6
	v_fmac_f32_e32 v33, 0x3f167918, v11
	v_fmac_f32_e32 v42, 0xbf167918, v11
	v_mov_b32_e32 v11, v13
	v_add_f32_e32 v19, v18, v19
	v_add_f32_e32 v1, v1, v23
	v_sub_f32_e32 v34, v10, v4
	v_add_f32_e32 v38, v21, v43
	v_fmac_f32_e32 v11, 0x3f737871, v35
	v_add_f32_e32 v19, v19, v32
	v_add_f32_e32 v1, v1, v17
	v_fma_f32 v38, -0.5, v38, v26
	v_fmac_f32_e32 v11, 0x3f167918, v34
	v_add_f32_e32 v21, v19, v43
	v_sub_f32_e32 v19, v31, v9
	v_sub_f32_e32 v26, v12, v7
	v_add_f32_e32 v1, v1, v41
	v_fmac_f32_e32 v11, 0x3e9e377a, v30
	v_add_f32_e32 v19, v19, v26
	v_add_f32_e32 v26, v1, v15
	v_sub_f32_e32 v1, v23, v15
	v_sub_f32_e32 v15, v17, v41
	v_mul_f32_e32 v17, 0x3f4f1bbd, v20
	v_fmac_f32_e32 v33, 0x3e9e377a, v3
	v_fmac_f32_e32 v42, 0x3e9e377a, v3
	v_mul_f32_e32 v3, 0x3f4f1bbd, v11
	v_fma_f32 v29, v11, s1, -v17
	v_sub_f32_e32 v11, v9, v31
	v_sub_f32_e32 v17, v7, v12
	v_mov_b32_e32 v39, v38
	v_add_f32_e32 v11, v11, v17
	v_add_f32_e32 v17, v31, v12
	v_fmac_f32_e32 v39, 0xbf737871, v34
	v_fmac_f32_e32 v38, 0x3f737871, v34
	v_fma_f32 v32, -0.5, v17, v0
	v_fmac_f32_e32 v39, 0x3f167918, v35
	v_fmac_f32_e32 v38, 0xbf167918, v35
	;; [unrolled: 1-line block ×3, first 2 shown]
	v_mov_b32_e32 v35, v32
	v_fmac_f32_e32 v35, 0x3f737871, v15
	v_fmac_f32_e32 v32, 0xbf737871, v15
	;; [unrolled: 1-line block ×5, first 2 shown]
	v_mul_f32_e32 v17, 0x3e9e377a, v40
	v_fmac_f32_e32 v35, 0x3e9e377a, v11
	v_fmac_f32_e32 v32, 0x3e9e377a, v11
	v_add_f32_e32 v11, v9, v7
	v_fmac_f32_e32 v38, 0x3e9e377a, v16
	v_fmac_f32_e32 v13, 0xbf167918, v34
	v_mul_f32_e32 v16, 0x3e9e377a, v39
	v_fma_f32 v34, v39, s0, -v17
	v_fma_f32 v39, -0.5, v11, v0
	v_add_f32_e32 v0, v0, v31
	v_add_f32_e32 v0, v0, v9
	;; [unrolled: 1-line block ×5, first 2 shown]
	v_fmac_f32_e32 v13, 0x3e9e377a, v30
	v_fma_f32 v30, v40, s6, -v16
	v_mov_b32_e32 v40, v39
	v_fmac_f32_e32 v39, 0x3f737871, v1
	v_add_f32_e32 v0, v0, v10
	v_mul_f32_e32 v27, 0xbf737871, v5
	v_mul_f32_e32 v23, 0xbf167918, v44
	v_fmac_f32_e32 v40, 0xbf737871, v1
	v_fmac_f32_e32 v39, 0x3f167918, v15
	v_mul_f32_e32 v41, 0x3f167918, v13
	v_add_f32_e32 v0, v0, v4
	v_fmac_f32_e32 v27, 0x3e9e377a, v38
	v_fmac_f32_e32 v23, 0x3f4f1bbd, v13
	v_mul_f32_e32 v38, 0x3f737871, v38
	v_fmac_f32_e32 v40, 0xbf167918, v15
	v_fmac_f32_e32 v39, 0x3e9e377a, v19
	;; [unrolled: 1-line block ×3, first 2 shown]
	v_add_f32_e32 v10, v0, v6
	v_fmac_f32_e32 v37, 0x3e9e377a, v14
	v_fmac_f32_e32 v36, 0x3e9e377a, v14
	v_fma_f32 v3, v20, s7, -v3
	v_fmac_f32_e32 v38, 0x3e9e377a, v5
	v_fmac_f32_e32 v40, 0x3e9e377a, v19
	v_sub_f32_e32 v0, v12, v10
	v_add_f32_e32 v9, v42, v23
	v_add_f32_e32 v11, v26, v21
	;; [unrolled: 1-line block ×4, first 2 shown]
	v_sub_f32_e32 v14, v33, v3
	v_sub_f32_e32 v16, v37, v30
	;; [unrolled: 1-line block ×9, first 2 shown]
	v_add_f32_e32 v3, v33, v3
	v_add_f32_e32 v5, v37, v30
	;; [unrolled: 1-line block ×6, first 2 shown]
	ds_write2_b64 v28, v[10:11], v[8:9] offset1:35
	ds_write2_b64 v28, v[6:7], v[4:5] offset0:70 offset1:105
	ds_write2_b64 v28, v[2:3], v[0:1] offset0:140 offset1:175
	;; [unrolled: 1-line block ×3, first 2 shown]
	v_add_u32_e32 v0, 0x800, v28
	ds_write2_b64 v0, v[15:16], v[13:14] offset0:24 offset1:59
.LBB0_25:
	s_or_b64 exec, exec, s[4:5]
	s_waitcnt lgkmcnt(0)
	; wave barrier
	s_waitcnt lgkmcnt(0)
	s_and_saveexec_b64 s[0:1], vcc
	s_cbranch_execz .LBB0_27
; %bb.26:
	v_lshl_add_u32 v6, v22, 3, 0
	v_mov_b32_e32 v23, 0
	ds_read2_b64 v[0:3], v6 offset1:50
	v_mov_b32_e32 v4, s3
	v_add_co_u32_e32 v7, vcc, s2, v24
	v_addc_co_u32_e32 v8, vcc, v4, v25, vcc
	v_lshlrev_b64 v[4:5], 3, v[22:23]
	v_add_co_u32_e32 v4, vcc, v7, v4
	v_addc_co_u32_e32 v5, vcc, v8, v5, vcc
	s_waitcnt lgkmcnt(0)
	global_store_dwordx2 v[4:5], v[0:1], off
	v_add_u32_e32 v0, 50, v22
	v_mov_b32_e32 v1, v23
	v_lshlrev_b64 v[0:1], 3, v[0:1]
	v_add_u32_e32 v4, 0x64, v22
	v_add_co_u32_e32 v0, vcc, v7, v0
	v_addc_co_u32_e32 v1, vcc, v8, v1, vcc
	global_store_dwordx2 v[0:1], v[2:3], off
	v_mov_b32_e32 v5, v23
	ds_read2_b64 v[0:3], v6 offset0:100 offset1:150
	v_lshlrev_b64 v[4:5], 3, v[4:5]
	v_add_co_u32_e32 v4, vcc, v7, v4
	v_addc_co_u32_e32 v5, vcc, v8, v5, vcc
	s_waitcnt lgkmcnt(0)
	global_store_dwordx2 v[4:5], v[0:1], off
	v_add_u32_e32 v0, 0x96, v22
	v_mov_b32_e32 v1, v23
	v_lshlrev_b64 v[0:1], 3, v[0:1]
	v_add_u32_e32 v4, 0xc8, v22
	v_add_co_u32_e32 v0, vcc, v7, v0
	v_addc_co_u32_e32 v1, vcc, v8, v1, vcc
	global_store_dwordx2 v[0:1], v[2:3], off
	v_mov_b32_e32 v5, v23
	ds_read2_b64 v[0:3], v6 offset0:200 offset1:250
	v_lshlrev_b64 v[4:5], 3, v[4:5]
	v_add_co_u32_e32 v4, vcc, v7, v4
	v_addc_co_u32_e32 v5, vcc, v8, v5, vcc
	s_waitcnt lgkmcnt(0)
	global_store_dwordx2 v[4:5], v[0:1], off
	v_add_u32_e32 v0, 0xfa, v22
	v_mov_b32_e32 v1, v23
	v_lshlrev_b64 v[0:1], 3, v[0:1]
	v_add_u32_e32 v22, 0x12c, v22
	v_add_co_u32_e32 v0, vcc, v7, v0
	v_addc_co_u32_e32 v1, vcc, v8, v1, vcc
	global_store_dwordx2 v[0:1], v[2:3], off
	ds_read_b64 v[0:1], v6 offset:2400
	v_lshlrev_b64 v[2:3], 3, v[22:23]
	v_add_co_u32_e32 v2, vcc, v7, v2
	v_addc_co_u32_e32 v3, vcc, v8, v3, vcc
	s_waitcnt lgkmcnt(0)
	global_store_dwordx2 v[2:3], v[0:1], off
.LBB0_27:
	s_endpgm
	.section	.rodata,"a",@progbits
	.p2align	6, 0x0
	.amdhsa_kernel fft_rtc_fwd_len350_factors_5_7_10_wgs_50_tpt_50_sp_ip_CI_unitstride_sbrr_C2R_dirReg
		.amdhsa_group_segment_fixed_size 0
		.amdhsa_private_segment_fixed_size 0
		.amdhsa_kernarg_size 88
		.amdhsa_user_sgpr_count 6
		.amdhsa_user_sgpr_private_segment_buffer 1
		.amdhsa_user_sgpr_dispatch_ptr 0
		.amdhsa_user_sgpr_queue_ptr 0
		.amdhsa_user_sgpr_kernarg_segment_ptr 1
		.amdhsa_user_sgpr_dispatch_id 0
		.amdhsa_user_sgpr_flat_scratch_init 0
		.amdhsa_user_sgpr_private_segment_size 0
		.amdhsa_uses_dynamic_stack 0
		.amdhsa_system_sgpr_private_segment_wavefront_offset 0
		.amdhsa_system_sgpr_workgroup_id_x 1
		.amdhsa_system_sgpr_workgroup_id_y 0
		.amdhsa_system_sgpr_workgroup_id_z 0
		.amdhsa_system_sgpr_workgroup_info 0
		.amdhsa_system_vgpr_workitem_id 0
		.amdhsa_next_free_vgpr 45
		.amdhsa_next_free_sgpr 22
		.amdhsa_reserve_vcc 1
		.amdhsa_reserve_flat_scratch 0
		.amdhsa_float_round_mode_32 0
		.amdhsa_float_round_mode_16_64 0
		.amdhsa_float_denorm_mode_32 3
		.amdhsa_float_denorm_mode_16_64 3
		.amdhsa_dx10_clamp 1
		.amdhsa_ieee_mode 1
		.amdhsa_fp16_overflow 0
		.amdhsa_exception_fp_ieee_invalid_op 0
		.amdhsa_exception_fp_denorm_src 0
		.amdhsa_exception_fp_ieee_div_zero 0
		.amdhsa_exception_fp_ieee_overflow 0
		.amdhsa_exception_fp_ieee_underflow 0
		.amdhsa_exception_fp_ieee_inexact 0
		.amdhsa_exception_int_div_zero 0
	.end_amdhsa_kernel
	.text
.Lfunc_end0:
	.size	fft_rtc_fwd_len350_factors_5_7_10_wgs_50_tpt_50_sp_ip_CI_unitstride_sbrr_C2R_dirReg, .Lfunc_end0-fft_rtc_fwd_len350_factors_5_7_10_wgs_50_tpt_50_sp_ip_CI_unitstride_sbrr_C2R_dirReg
                                        ; -- End function
	.section	.AMDGPU.csdata,"",@progbits
; Kernel info:
; codeLenInByte = 5388
; NumSgprs: 26
; NumVgprs: 45
; ScratchSize: 0
; MemoryBound: 0
; FloatMode: 240
; IeeeMode: 1
; LDSByteSize: 0 bytes/workgroup (compile time only)
; SGPRBlocks: 3
; VGPRBlocks: 11
; NumSGPRsForWavesPerEU: 26
; NumVGPRsForWavesPerEU: 45
; Occupancy: 5
; WaveLimiterHint : 1
; COMPUTE_PGM_RSRC2:SCRATCH_EN: 0
; COMPUTE_PGM_RSRC2:USER_SGPR: 6
; COMPUTE_PGM_RSRC2:TRAP_HANDLER: 0
; COMPUTE_PGM_RSRC2:TGID_X_EN: 1
; COMPUTE_PGM_RSRC2:TGID_Y_EN: 0
; COMPUTE_PGM_RSRC2:TGID_Z_EN: 0
; COMPUTE_PGM_RSRC2:TIDIG_COMP_CNT: 0
	.type	__hip_cuid_693ce6cf93c8b2a8,@object ; @__hip_cuid_693ce6cf93c8b2a8
	.section	.bss,"aw",@nobits
	.globl	__hip_cuid_693ce6cf93c8b2a8
__hip_cuid_693ce6cf93c8b2a8:
	.byte	0                               ; 0x0
	.size	__hip_cuid_693ce6cf93c8b2a8, 1

	.ident	"AMD clang version 19.0.0git (https://github.com/RadeonOpenCompute/llvm-project roc-6.4.0 25133 c7fe45cf4b819c5991fe208aaa96edf142730f1d)"
	.section	".note.GNU-stack","",@progbits
	.addrsig
	.addrsig_sym __hip_cuid_693ce6cf93c8b2a8
	.amdgpu_metadata
---
amdhsa.kernels:
  - .args:
      - .actual_access:  read_only
        .address_space:  global
        .offset:         0
        .size:           8
        .value_kind:     global_buffer
      - .offset:         8
        .size:           8
        .value_kind:     by_value
      - .actual_access:  read_only
        .address_space:  global
        .offset:         16
        .size:           8
        .value_kind:     global_buffer
      - .actual_access:  read_only
        .address_space:  global
        .offset:         24
        .size:           8
        .value_kind:     global_buffer
      - .offset:         32
        .size:           8
        .value_kind:     by_value
      - .actual_access:  read_only
        .address_space:  global
        .offset:         40
        .size:           8
        .value_kind:     global_buffer
      - .actual_access:  read_only
        .address_space:  global
        .offset:         48
        .size:           8
        .value_kind:     global_buffer
      - .offset:         56
        .size:           4
        .value_kind:     by_value
      - .actual_access:  read_only
        .address_space:  global
        .offset:         64
        .size:           8
        .value_kind:     global_buffer
      - .actual_access:  read_only
        .address_space:  global
        .offset:         72
        .size:           8
        .value_kind:     global_buffer
      - .address_space:  global
        .offset:         80
        .size:           8
        .value_kind:     global_buffer
    .group_segment_fixed_size: 0
    .kernarg_segment_align: 8
    .kernarg_segment_size: 88
    .language:       OpenCL C
    .language_version:
      - 2
      - 0
    .max_flat_workgroup_size: 50
    .name:           fft_rtc_fwd_len350_factors_5_7_10_wgs_50_tpt_50_sp_ip_CI_unitstride_sbrr_C2R_dirReg
    .private_segment_fixed_size: 0
    .sgpr_count:     26
    .sgpr_spill_count: 0
    .symbol:         fft_rtc_fwd_len350_factors_5_7_10_wgs_50_tpt_50_sp_ip_CI_unitstride_sbrr_C2R_dirReg.kd
    .uniform_work_group_size: 1
    .uses_dynamic_stack: false
    .vgpr_count:     45
    .vgpr_spill_count: 0
    .wavefront_size: 64
amdhsa.target:   amdgcn-amd-amdhsa--gfx906
amdhsa.version:
  - 1
  - 2
...

	.end_amdgpu_metadata
